;; amdgpu-corpus repo=ROCm/rocFFT kind=compiled arch=gfx906 opt=O3
	.text
	.amdgcn_target "amdgcn-amd-amdhsa--gfx906"
	.amdhsa_code_object_version 6
	.protected	fft_rtc_fwd_len294_factors_6_7_7_wgs_126_tpt_42_dp_ip_CI_sbrr_dirReg ; -- Begin function fft_rtc_fwd_len294_factors_6_7_7_wgs_126_tpt_42_dp_ip_CI_sbrr_dirReg
	.globl	fft_rtc_fwd_len294_factors_6_7_7_wgs_126_tpt_42_dp_ip_CI_sbrr_dirReg
	.p2align	8
	.type	fft_rtc_fwd_len294_factors_6_7_7_wgs_126_tpt_42_dp_ip_CI_sbrr_dirReg,@function
fft_rtc_fwd_len294_factors_6_7_7_wgs_126_tpt_42_dp_ip_CI_sbrr_dirReg: ; @fft_rtc_fwd_len294_factors_6_7_7_wgs_126_tpt_42_dp_ip_CI_sbrr_dirReg
; %bb.0:
	s_load_dwordx2 s[14:15], s[4:5], 0x18
	s_load_dwordx4 s[8:11], s[4:5], 0x0
	s_load_dwordx2 s[12:13], s[4:5], 0x50
	v_mul_u32_u24_e32 v1, 0x619, v0
	v_lshrrev_b32_e32 v1, 16, v1
	s_waitcnt lgkmcnt(0)
	s_load_dwordx2 s[2:3], s[14:15], 0x0
	v_mad_u64_u32 v[1:2], s[0:1], s6, 3, v[1:2]
	v_mov_b32_e32 v5, 0
	v_cmp_lt_u64_e64 s[0:1], s[10:11], 2
	v_mov_b32_e32 v2, v5
	v_mov_b32_e32 v3, 0
	;; [unrolled: 1-line block ×3, first 2 shown]
	s_and_b64 vcc, exec, s[0:1]
	v_mov_b32_e32 v4, 0
	v_mov_b32_e32 v9, v1
	s_cbranch_vccnz .LBB0_8
; %bb.1:
	s_load_dwordx2 s[0:1], s[4:5], 0x10
	s_add_u32 s6, s14, 8
	s_addc_u32 s7, s15, 0
	v_mov_b32_e32 v3, 0
	v_mov_b32_e32 v8, v2
	s_waitcnt lgkmcnt(0)
	s_add_u32 s18, s0, 8
	s_mov_b64 s[16:17], 1
	v_mov_b32_e32 v4, 0
	s_addc_u32 s19, s1, 0
	v_mov_b32_e32 v7, v1
.LBB0_2:                                ; =>This Inner Loop Header: Depth=1
	s_load_dwordx2 s[20:21], s[18:19], 0x0
                                        ; implicit-def: $vgpr9_vgpr10
	s_waitcnt lgkmcnt(0)
	v_or_b32_e32 v6, s21, v8
	v_cmp_ne_u64_e32 vcc, 0, v[5:6]
	s_and_saveexec_b64 s[0:1], vcc
	s_xor_b64 s[22:23], exec, s[0:1]
	s_cbranch_execz .LBB0_4
; %bb.3:                                ;   in Loop: Header=BB0_2 Depth=1
	v_cvt_f32_u32_e32 v2, s20
	v_cvt_f32_u32_e32 v6, s21
	s_sub_u32 s0, 0, s20
	s_subb_u32 s1, 0, s21
	v_mac_f32_e32 v2, 0x4f800000, v6
	v_rcp_f32_e32 v2, v2
	v_mul_f32_e32 v2, 0x5f7ffffc, v2
	v_mul_f32_e32 v6, 0x2f800000, v2
	v_trunc_f32_e32 v6, v6
	v_mac_f32_e32 v2, 0xcf800000, v6
	v_cvt_u32_f32_e32 v6, v6
	v_cvt_u32_f32_e32 v2, v2
	v_mul_lo_u32 v9, s0, v6
	v_mul_hi_u32 v10, s0, v2
	v_mul_lo_u32 v12, s1, v2
	v_mul_lo_u32 v11, s0, v2
	v_add_u32_e32 v9, v10, v9
	v_add_u32_e32 v9, v9, v12
	v_mul_hi_u32 v10, v2, v11
	v_mul_lo_u32 v12, v2, v9
	v_mul_hi_u32 v14, v2, v9
	v_mul_hi_u32 v13, v6, v11
	v_mul_lo_u32 v11, v6, v11
	v_mul_hi_u32 v15, v6, v9
	v_add_co_u32_e32 v10, vcc, v10, v12
	v_addc_co_u32_e32 v12, vcc, 0, v14, vcc
	v_mul_lo_u32 v9, v6, v9
	v_add_co_u32_e32 v10, vcc, v10, v11
	v_addc_co_u32_e32 v10, vcc, v12, v13, vcc
	v_addc_co_u32_e32 v11, vcc, 0, v15, vcc
	v_add_co_u32_e32 v9, vcc, v10, v9
	v_addc_co_u32_e32 v10, vcc, 0, v11, vcc
	v_add_co_u32_e32 v2, vcc, v2, v9
	v_addc_co_u32_e32 v6, vcc, v6, v10, vcc
	v_mul_lo_u32 v9, s0, v6
	v_mul_hi_u32 v10, s0, v2
	v_mul_lo_u32 v11, s1, v2
	v_mul_lo_u32 v12, s0, v2
	v_add_u32_e32 v9, v10, v9
	v_add_u32_e32 v9, v9, v11
	v_mul_lo_u32 v13, v2, v9
	v_mul_hi_u32 v14, v2, v12
	v_mul_hi_u32 v15, v2, v9
	;; [unrolled: 1-line block ×3, first 2 shown]
	v_mul_lo_u32 v12, v6, v12
	v_mul_hi_u32 v10, v6, v9
	v_add_co_u32_e32 v13, vcc, v14, v13
	v_addc_co_u32_e32 v14, vcc, 0, v15, vcc
	v_mul_lo_u32 v9, v6, v9
	v_add_co_u32_e32 v12, vcc, v13, v12
	v_addc_co_u32_e32 v11, vcc, v14, v11, vcc
	v_addc_co_u32_e32 v10, vcc, 0, v10, vcc
	v_add_co_u32_e32 v9, vcc, v11, v9
	v_addc_co_u32_e32 v10, vcc, 0, v10, vcc
	v_add_co_u32_e32 v2, vcc, v2, v9
	v_addc_co_u32_e32 v6, vcc, v6, v10, vcc
	v_mad_u64_u32 v[9:10], s[0:1], v7, v6, 0
	v_mul_hi_u32 v11, v7, v2
	v_add_co_u32_e32 v13, vcc, v11, v9
	v_addc_co_u32_e32 v14, vcc, 0, v10, vcc
	v_mad_u64_u32 v[9:10], s[0:1], v8, v2, 0
	v_mad_u64_u32 v[11:12], s[0:1], v8, v6, 0
	v_add_co_u32_e32 v2, vcc, v13, v9
	v_addc_co_u32_e32 v2, vcc, v14, v10, vcc
	v_addc_co_u32_e32 v6, vcc, 0, v12, vcc
	v_add_co_u32_e32 v2, vcc, v2, v11
	v_addc_co_u32_e32 v6, vcc, 0, v6, vcc
	v_mul_lo_u32 v11, s21, v2
	v_mul_lo_u32 v12, s20, v6
	v_mad_u64_u32 v[9:10], s[0:1], s20, v2, 0
	v_add3_u32 v10, v10, v12, v11
	v_sub_u32_e32 v11, v8, v10
	v_mov_b32_e32 v12, s21
	v_sub_co_u32_e32 v9, vcc, v7, v9
	v_subb_co_u32_e64 v11, s[0:1], v11, v12, vcc
	v_subrev_co_u32_e64 v12, s[0:1], s20, v9
	v_subbrev_co_u32_e64 v11, s[0:1], 0, v11, s[0:1]
	v_cmp_le_u32_e64 s[0:1], s21, v11
	v_cndmask_b32_e64 v13, 0, -1, s[0:1]
	v_cmp_le_u32_e64 s[0:1], s20, v12
	v_cndmask_b32_e64 v12, 0, -1, s[0:1]
	v_cmp_eq_u32_e64 s[0:1], s21, v11
	v_cndmask_b32_e64 v11, v13, v12, s[0:1]
	v_add_co_u32_e64 v12, s[0:1], 2, v2
	v_addc_co_u32_e64 v13, s[0:1], 0, v6, s[0:1]
	v_add_co_u32_e64 v14, s[0:1], 1, v2
	v_addc_co_u32_e64 v15, s[0:1], 0, v6, s[0:1]
	v_subb_co_u32_e32 v10, vcc, v8, v10, vcc
	v_cmp_ne_u32_e64 s[0:1], 0, v11
	v_cmp_le_u32_e32 vcc, s21, v10
	v_cndmask_b32_e64 v11, v15, v13, s[0:1]
	v_cndmask_b32_e64 v13, 0, -1, vcc
	v_cmp_le_u32_e32 vcc, s20, v9
	v_cndmask_b32_e64 v9, 0, -1, vcc
	v_cmp_eq_u32_e32 vcc, s21, v10
	v_cndmask_b32_e32 v9, v13, v9, vcc
	v_cmp_ne_u32_e32 vcc, 0, v9
	v_cndmask_b32_e32 v10, v6, v11, vcc
	v_cndmask_b32_e64 v6, v14, v12, s[0:1]
	v_cndmask_b32_e32 v9, v2, v6, vcc
.LBB0_4:                                ;   in Loop: Header=BB0_2 Depth=1
	s_andn2_saveexec_b64 s[0:1], s[22:23]
	s_cbranch_execz .LBB0_6
; %bb.5:                                ;   in Loop: Header=BB0_2 Depth=1
	v_cvt_f32_u32_e32 v2, s20
	s_sub_i32 s22, 0, s20
	v_rcp_iflag_f32_e32 v2, v2
	v_mul_f32_e32 v2, 0x4f7ffffe, v2
	v_cvt_u32_f32_e32 v2, v2
	v_mul_lo_u32 v6, s22, v2
	v_mul_hi_u32 v6, v2, v6
	v_add_u32_e32 v2, v2, v6
	v_mul_hi_u32 v2, v7, v2
	v_mul_lo_u32 v6, v2, s20
	v_add_u32_e32 v9, 1, v2
	v_sub_u32_e32 v6, v7, v6
	v_subrev_u32_e32 v10, s20, v6
	v_cmp_le_u32_e32 vcc, s20, v6
	v_cndmask_b32_e32 v6, v6, v10, vcc
	v_cndmask_b32_e32 v2, v2, v9, vcc
	v_add_u32_e32 v9, 1, v2
	v_cmp_le_u32_e32 vcc, s20, v6
	v_cndmask_b32_e32 v9, v2, v9, vcc
	v_mov_b32_e32 v10, v5
.LBB0_6:                                ;   in Loop: Header=BB0_2 Depth=1
	s_or_b64 exec, exec, s[0:1]
	v_mul_lo_u32 v2, v10, s20
	v_mul_lo_u32 v6, v9, s21
	v_mad_u64_u32 v[11:12], s[0:1], v9, s20, 0
	s_load_dwordx2 s[0:1], s[6:7], 0x0
	s_add_u32 s16, s16, 1
	v_add3_u32 v2, v12, v6, v2
	v_sub_co_u32_e32 v6, vcc, v7, v11
	v_subb_co_u32_e32 v2, vcc, v8, v2, vcc
	s_waitcnt lgkmcnt(0)
	v_mul_lo_u32 v2, s0, v2
	v_mul_lo_u32 v7, s1, v6
	v_mad_u64_u32 v[3:4], s[0:1], s0, v6, v[3:4]
	s_addc_u32 s17, s17, 0
	s_add_u32 s6, s6, 8
	v_add3_u32 v4, v7, v4, v2
	v_mov_b32_e32 v6, s10
	v_mov_b32_e32 v7, s11
	s_addc_u32 s7, s7, 0
	v_cmp_ge_u64_e32 vcc, s[16:17], v[6:7]
	s_add_u32 s18, s18, 8
	s_addc_u32 s19, s19, 0
	s_cbranch_vccnz .LBB0_8
; %bb.7:                                ;   in Loop: Header=BB0_2 Depth=1
	v_mov_b32_e32 v7, v9
	v_mov_b32_e32 v8, v10
	s_branch .LBB0_2
.LBB0_8:
	s_lshl_b64 s[0:1], s[10:11], 3
	s_add_u32 s0, s14, s0
	s_addc_u32 s1, s15, s1
	s_load_dwordx2 s[0:1], s[0:1], 0x0
	s_mov_b32 s6, 0xaaaaaaab
	v_mul_hi_u32 v5, v1, s6
                                        ; implicit-def: $vgpr31
	s_waitcnt lgkmcnt(0)
	v_mul_lo_u32 v6, s0, v10
	v_mul_lo_u32 v7, s1, v9
	v_mad_u64_u32 v[2:3], s[0:1], s0, v9, v[3:4]
	s_load_dwordx2 s[0:1], s[4:5], 0x20
	s_mov_b32 s4, 0x6186187
	v_lshrrev_b32_e32 v4, 1, v5
	v_mul_hi_u32 v5, v0, s4
	v_lshl_add_u32 v4, v4, 1, v4
	v_sub_u32_e32 v1, v1, v4
	s_waitcnt lgkmcnt(0)
	v_cmp_gt_u64_e32 vcc, s[0:1], v[9:10]
	v_mul_u32_u24_e32 v4, 42, v5
	v_cmp_le_u64_e64 s[0:1], s[0:1], v[9:10]
	v_sub_u32_e32 v26, v0, v4
	v_add3_u32 v3, v7, v3, v6
	v_add_u32_e32 v27, 42, v26
	s_and_saveexec_b64 s[4:5], s[0:1]
	s_xor_b64 s[0:1], exec, s[4:5]
; %bb.9:
	v_add_u32_e32 v31, 42, v26
; %bb.10:
	s_or_saveexec_b64 s[4:5], s[0:1]
	v_mul_u32_u24_e32 v0, 0x126, v1
	v_lshlrev_b64 v[24:25], 4, v[2:3]
	v_lshlrev_b32_e32 v30, 4, v0
	v_lshlrev_b32_e32 v0, 4, v26
	s_xor_b64 exec, exec, s[4:5]
	s_cbranch_execz .LBB0_12
; %bb.11:
	v_mad_u64_u32 v[1:2], s[0:1], s2, v26, 0
	v_mov_b32_e32 v5, s13
	v_mad_u64_u32 v[2:3], s[0:1], s3, v26, v[2:3]
	v_mad_u64_u32 v[3:4], s[0:1], s2, v27, 0
	v_add_co_u32_e64 v41, s[0:1], s12, v24
	v_addc_co_u32_e64 v42, s[0:1], v5, v25, s[0:1]
	v_mad_u64_u32 v[4:5], s[0:1], s3, v27, v[4:5]
	v_lshlrev_b64 v[1:2], 4, v[1:2]
	v_add_u32_e32 v5, 0x7e, v26
	v_add_co_u32_e64 v9, s[0:1], v41, v1
	v_addc_co_u32_e64 v10, s[0:1], v42, v2, s[0:1]
	v_lshlrev_b64 v[1:2], 4, v[3:4]
	v_add_u32_e32 v4, 0x54, v26
	v_mad_u64_u32 v[11:12], s[0:1], s2, v4, 0
	v_mad_u64_u32 v[13:14], s[0:1], s2, v5, 0
	v_mov_b32_e32 v3, v12
	v_mad_u64_u32 v[3:4], s[0:1], s3, v4, v[3:4]
	v_mov_b32_e32 v4, v14
	v_mad_u64_u32 v[4:5], s[0:1], s3, v5, v[4:5]
	v_add_co_u32_e64 v15, s[0:1], v41, v1
	v_addc_co_u32_e64 v16, s[0:1], v42, v2, s[0:1]
	v_add_u32_e32 v2, 0xa8, v26
	v_mad_u64_u32 v[17:18], s[0:1], s2, v2, 0
	v_mov_b32_e32 v12, v3
	v_add_u32_e32 v3, 0xd2, v26
	v_mad_u64_u32 v[19:20], s[0:1], s2, v3, 0
	v_mov_b32_e32 v1, v18
	v_mov_b32_e32 v14, v4
	v_mad_u64_u32 v[1:2], s[0:1], s3, v2, v[1:2]
	v_add_u32_e32 v4, 0xfc, v26
	v_mov_b32_e32 v2, v20
	v_mad_u64_u32 v[21:22], s[0:1], s2, v4, 0
	v_mad_u64_u32 v[2:3], s[0:1], s3, v3, v[2:3]
	v_mov_b32_e32 v18, v1
	v_mov_b32_e32 v1, v22
	v_mad_u64_u32 v[22:23], s[0:1], s3, v4, v[1:2]
	v_mov_b32_e32 v20, v2
	global_load_dwordx4 v[1:4], v[9:10], off
	global_load_dwordx4 v[5:8], v[15:16], off
	v_lshlrev_b64 v[9:10], 4, v[11:12]
	v_lshlrev_b64 v[11:12], 4, v[13:14]
	v_add_co_u32_e64 v28, s[0:1], v41, v9
	v_addc_co_u32_e64 v29, s[0:1], v42, v10, s[0:1]
	v_lshlrev_b64 v[13:14], 4, v[17:18]
	v_add_co_u32_e64 v35, s[0:1], v41, v11
	v_addc_co_u32_e64 v36, s[0:1], v42, v12, s[0:1]
	v_lshlrev_b64 v[15:16], 4, v[19:20]
	v_add_co_u32_e64 v37, s[0:1], v41, v13
	v_addc_co_u32_e64 v38, s[0:1], v42, v14, s[0:1]
	v_add_co_u32_e64 v39, s[0:1], v41, v15
	v_addc_co_u32_e64 v40, s[0:1], v42, v16, s[0:1]
	global_load_dwordx4 v[9:12], v[28:29], off
	global_load_dwordx4 v[13:16], v[35:36], off
	;; [unrolled: 1-line block ×4, first 2 shown]
	v_lshlrev_b64 v[21:22], 4, v[21:22]
	v_add_co_u32_e64 v21, s[0:1], v41, v21
	v_addc_co_u32_e64 v22, s[0:1], v42, v22, s[0:1]
	global_load_dwordx4 v[35:38], v[21:22], off
	v_add3_u32 v21, 0, v30, v0
	s_waitcnt vmcnt(6)
	ds_write_b128 v21, v[1:4]
	s_waitcnt vmcnt(5)
	ds_write_b128 v21, v[5:8] offset:672
	s_waitcnt vmcnt(4)
	ds_write_b128 v21, v[9:12] offset:1344
	;; [unrolled: 2-line block ×6, first 2 shown]
	v_mov_b32_e32 v31, v27
.LBB0_12:
	s_or_b64 exec, exec, s[4:5]
	v_add3_u32 v29, 0, v0, v30
	s_waitcnt lgkmcnt(0)
	s_barrier
	v_add3_u32 v28, 0, v30, v0
	ds_read_b128 v[8:11], v29 offset:1568
	ds_read_b128 v[12:15], v28
	ds_read_b128 v[16:19], v29 offset:2352
	ds_read_b128 v[20:23], v29 offset:3920
	;; [unrolled: 1-line block ×6, first 2 shown]
	s_waitcnt lgkmcnt(4)
	v_add_f64 v[40:41], v[18:19], v[22:23]
	v_add_f64 v[46:47], v[16:17], v[20:21]
	;; [unrolled: 1-line block ×3, first 2 shown]
	s_mov_b32 s4, 0xe8584caa
	s_waitcnt lgkmcnt(0)
	v_add_f64 v[50:51], v[36:37], v[16:17]
	v_add_f64 v[52:53], v[38:39], v[18:19]
	v_add_f64 v[16:17], v[16:17], -v[20:21]
	v_add_f64 v[18:19], v[18:19], -v[22:23]
	v_fma_f64 v[38:39], v[40:41], -0.5, v[38:39]
	v_fma_f64 v[36:37], v[46:47], -0.5, v[36:37]
	s_mov_b32 s5, 0x3febb67a
	s_mov_b32 s7, 0xbfebb67a
	;; [unrolled: 1-line block ×3, first 2 shown]
	v_add_f64 v[44:45], v[14:15], v[10:11]
	v_add_f64 v[48:49], v[8:9], v[32:33]
	;; [unrolled: 1-line block ×3, first 2 shown]
	v_fma_f64 v[46:47], v[16:17], s[6:7], v[38:39]
	v_fma_f64 v[58:59], v[18:19], s[4:5], v[36:37]
	v_add_f64 v[56:57], v[8:9], -v[32:33]
	v_add_f64 v[42:43], v[42:43], v[32:33]
	v_fma_f64 v[32:33], v[18:19], s[6:7], v[36:37]
	v_fma_f64 v[36:37], v[16:17], s[4:5], v[38:39]
	v_add_f64 v[40:41], v[10:11], -v[34:35]
	v_add_f64 v[44:45], v[44:45], v[34:35]
	v_mul_f64 v[18:19], v[46:47], s[4:5]
	v_fma_f64 v[34:35], v[48:49], -0.5, v[12:13]
	v_mul_f64 v[16:17], v[58:59], s[6:7]
	v_fma_f64 v[38:39], v[54:55], -0.5, v[14:15]
	v_add_f64 v[20:21], v[50:51], v[20:21]
	v_add_f64 v[22:23], v[52:53], v[22:23]
	v_mul_f64 v[50:51], v[32:33], -0.5
	v_mul_f64 v[52:53], v[36:37], -0.5
	v_fma_f64 v[48:49], v[58:59], 0.5, v[18:19]
	v_fma_f64 v[54:55], v[40:41], s[4:5], v[34:35]
	v_fma_f64 v[46:47], v[46:47], 0.5, v[16:17]
	v_fma_f64 v[58:59], v[56:57], s[6:7], v[38:39]
	v_fma_f64 v[60:61], v[40:41], s[6:7], v[34:35]
	;; [unrolled: 1-line block ×5, first 2 shown]
	v_add_f64 v[32:33], v[42:43], v[20:21]
	v_add_f64 v[34:35], v[44:45], v[22:23]
	v_add_f64 v[36:37], v[42:43], -v[20:21]
	v_add_f64 v[40:41], v[54:55], v[48:49]
	v_add_f64 v[42:43], v[58:59], v[46:47]
	v_add_f64 v[38:39], v[44:45], -v[22:23]
	v_add_f64 v[44:45], v[54:55], -v[48:49]
	v_add_f64 v[48:49], v[60:61], v[62:63]
	v_add_f64 v[50:51], v[56:57], v[64:65]
	ds_read_b128 v[8:11], v29 offset:3808
	ds_read_b128 v[20:23], v29 offset:4592
	;; [unrolled: 1-line block ×4, first 2 shown]
	v_add_f64 v[46:47], v[58:59], -v[46:47]
	v_add_f64 v[52:53], v[60:61], -v[62:63]
	v_add_f64 v[54:55], v[56:57], -v[64:65]
	s_movk_i32 s0, 0x50
	v_mad_u32_u24 v56, v26, s0, v29
	v_cmp_gt_u32_e64 s[0:1], 7, v26
	s_waitcnt lgkmcnt(0)
	s_barrier
	ds_write_b128 v56, v[32:35]
	ds_write_b128 v56, v[40:43] offset:16
	ds_write_b128 v56, v[48:51] offset:32
	;; [unrolled: 1-line block ×5, first 2 shown]
	s_and_saveexec_b64 s[10:11], s[0:1]
	s_cbranch_execz .LBB0_14
; %bb.13:
	v_add_f64 v[32:33], v[18:19], v[22:23]
	v_add_f64 v[34:35], v[16:17], v[20:21]
	v_add_f64 v[38:39], v[18:19], -v[22:23]
	v_add_f64 v[40:41], v[16:17], -v[20:21]
	v_add_f64 v[44:45], v[2:3], v[6:7]
	v_add_f64 v[42:43], v[6:7], v[10:11]
	v_add_f64 v[6:7], v[6:7], -v[10:11]
	v_add_f64 v[36:37], v[4:5], -v[8:9]
	v_fma_f64 v[32:33], v[32:33], -0.5, v[14:15]
	v_fma_f64 v[34:35], v[34:35], -0.5, v[12:13]
	v_add_f64 v[14:15], v[14:15], v[18:19]
	v_add_f64 v[18:19], v[4:5], v[8:9]
	;; [unrolled: 1-line block ×5, first 2 shown]
	v_fma_f64 v[2:3], v[42:43], -0.5, v[2:3]
	v_fma_f64 v[46:47], v[40:41], s[4:5], v[32:33]
	v_fma_f64 v[48:49], v[38:39], s[4:5], v[34:35]
	;; [unrolled: 1-line block ×4, first 2 shown]
	v_fma_f64 v[0:1], v[18:19], -0.5, v[0:1]
	v_add_f64 v[22:23], v[14:15], v[22:23]
	v_add_f64 v[8:9], v[4:5], v[8:9]
	v_fma_f64 v[14:15], v[36:37], s[4:5], v[2:3]
	v_mul_f64 v[18:19], v[46:47], -0.5
	v_mul_f64 v[32:33], v[48:49], s[6:7]
	v_mul_f64 v[38:39], v[34:35], -0.5
	v_mul_f64 v[42:43], v[10:11], s[4:5]
	v_fma_f64 v[36:37], v[36:37], s[6:7], v[2:3]
	v_fma_f64 v[44:45], v[6:7], s[4:5], v[0:1]
	;; [unrolled: 1-line block ×3, first 2 shown]
	v_add_f64 v[2:3], v[16:17], -v[22:23]
	v_fma_f64 v[18:19], v[34:35], s[6:7], v[18:19]
	v_fma_f64 v[32:33], v[10:11], 0.5, v[32:33]
	v_fma_f64 v[34:35], v[46:47], s[4:5], v[38:39]
	v_add_f64 v[38:39], v[12:13], v[20:21]
	v_fma_f64 v[42:43], v[48:49], 0.5, v[42:43]
	v_add_f64 v[22:23], v[16:17], v[22:23]
	v_add_f64 v[6:7], v[14:15], -v[18:19]
	v_add_f64 v[14:15], v[14:15], v[18:19]
	v_add_f64 v[18:19], v[36:37], v[32:33]
	;; [unrolled: 1-line block ×5, first 2 shown]
	v_add_f64 v[0:1], v[8:9], -v[38:39]
	v_add_f64 v[10:11], v[36:37], -v[32:33]
	;; [unrolled: 1-line block ×4, first 2 shown]
	v_mul_i32_i24_e32 v32, 6, v31
	v_lshlrev_b32_e32 v32, 4, v32
	v_add3_u32 v32, 0, v32, v30
	ds_write_b128 v32, v[20:23]
	ds_write_b128 v32, v[16:19] offset:16
	ds_write_b128 v32, v[12:15] offset:32
	ds_write_b128 v32, v[0:3] offset:48
	ds_write_b128 v32, v[8:11] offset:64
	ds_write_b128 v32, v[4:7] offset:80
.LBB0_14:
	s_or_b64 exec, exec, s[10:11]
	s_movk_i32 s0, 0xab
	v_mul_lo_u16_sdwa v0, v26, s0 dst_sel:DWORD dst_unused:UNUSED_PAD src0_sel:BYTE_0 src1_sel:DWORD
	v_lshrrev_b16_e32 v57, 10, v0
	v_mul_lo_u16_e32 v0, 6, v57
	v_sub_u16_e32 v58, v26, v0
	v_mov_b32_e32 v0, 6
	v_mul_u32_u24_sdwa v0, v58, v0 dst_sel:DWORD dst_unused:UNUSED_PAD src0_sel:BYTE_0 src1_sel:DWORD
	v_lshlrev_b32_e32 v32, 4, v0
	s_waitcnt lgkmcnt(0)
	s_barrier
	global_load_dwordx4 v[0:3], v32, s[8:9]
	global_load_dwordx4 v[4:7], v32, s[8:9] offset:16
	global_load_dwordx4 v[8:11], v32, s[8:9] offset:80
	;; [unrolled: 1-line block ×5, first 2 shown]
	v_lshlrev_b32_e32 v31, 4, v31
	v_add3_u32 v59, 0, v31, v30
	ds_read_b128 v[31:34], v59
	ds_read_b128 v[35:38], v29 offset:1344
	ds_read_b128 v[39:42], v28
	ds_read_b128 v[43:46], v29 offset:2016
	ds_read_b128 v[47:50], v29 offset:2688
	s_mov_b32 s24, 0x37e14327
	s_mov_b32 s10, 0x36b3c0b5
	;; [unrolled: 1-line block ×20, first 2 shown]
	s_movk_i32 s26, 0x2a0
	s_waitcnt vmcnt(5) lgkmcnt(4)
	v_mul_f64 v[51:52], v[33:34], v[2:3]
	v_mul_f64 v[2:3], v[31:32], v[2:3]
	s_waitcnt vmcnt(4) lgkmcnt(3)
	v_mul_f64 v[55:56], v[37:38], v[6:7]
	v_mul_f64 v[6:7], v[35:36], v[6:7]
	v_fma_f64 v[51:52], v[31:32], v[0:1], -v[51:52]
	v_fma_f64 v[53:54], v[33:34], v[0:1], v[2:3]
	ds_read_b128 v[0:3], v29 offset:4032
	ds_read_b128 v[31:34], v29 offset:3360
	v_fma_f64 v[35:36], v[35:36], v[4:5], -v[55:56]
	v_fma_f64 v[4:5], v[37:38], v[4:5], v[6:7]
	s_waitcnt vmcnt(2) lgkmcnt(3)
	v_mul_f64 v[37:38], v[45:46], v[14:15]
	s_waitcnt lgkmcnt(1)
	v_mul_f64 v[6:7], v[2:3], v[10:11]
	v_mul_f64 v[10:11], v[0:1], v[10:11]
	;; [unrolled: 1-line block ×3, first 2 shown]
	s_waitcnt vmcnt(0) lgkmcnt(0)
	s_barrier
	v_fma_f64 v[0:1], v[0:1], v[8:9], -v[6:7]
	v_fma_f64 v[2:3], v[2:3], v[8:9], v[10:11]
	v_mul_f64 v[6:7], v[33:34], v[18:19]
	v_mul_f64 v[8:9], v[31:32], v[18:19]
	;; [unrolled: 1-line block ×4, first 2 shown]
	v_fma_f64 v[22:23], v[43:44], v[12:13], -v[37:38]
	v_fma_f64 v[12:13], v[45:46], v[12:13], v[14:15]
	v_fma_f64 v[6:7], v[31:32], v[16:17], -v[6:7]
	v_fma_f64 v[8:9], v[33:34], v[16:17], v[8:9]
	;; [unrolled: 2-line block ×3, first 2 shown]
	v_add_f64 v[16:17], v[51:52], v[0:1]
	v_add_f64 v[18:19], v[53:54], v[2:3]
	v_add_f64 v[0:1], v[51:52], -v[0:1]
	v_add_f64 v[2:3], v[53:54], -v[2:3]
	v_add_f64 v[20:21], v[35:36], v[6:7]
	v_add_f64 v[31:32], v[4:5], v[8:9]
	v_add_f64 v[6:7], v[35:36], -v[6:7]
	v_add_f64 v[4:5], v[4:5], -v[8:9]
	;; [unrolled: 4-line block ×4, first 2 shown]
	v_add_f64 v[16:17], v[16:17], -v[8:9]
	v_add_f64 v[18:19], v[18:19], -v[33:34]
	;; [unrolled: 1-line block ×4, first 2 shown]
	v_add_f64 v[43:44], v[10:11], v[6:7]
	v_add_f64 v[45:46], v[12:13], v[4:5]
	v_add_f64 v[47:48], v[10:11], -v[6:7]
	v_add_f64 v[49:50], v[12:13], -v[4:5]
	v_add_f64 v[8:9], v[8:9], v[14:15]
	v_add_f64 v[14:15], v[33:34], v[22:23]
	v_add_f64 v[6:7], v[6:7], -v[0:1]
	v_add_f64 v[4:5], v[4:5], -v[2:3]
	;; [unrolled: 1-line block ×4, first 2 shown]
	v_add_f64 v[22:23], v[43:44], v[0:1]
	v_add_f64 v[33:34], v[45:46], v[2:3]
	v_mul_f64 v[16:17], v[16:17], s[24:25]
	v_mul_f64 v[18:19], v[18:19], s[24:25]
	;; [unrolled: 1-line block ×6, first 2 shown]
	v_add_f64 v[0:1], v[39:40], v[8:9]
	v_add_f64 v[2:3], v[41:42], v[14:15]
	v_mul_f64 v[51:52], v[6:7], s[4:5]
	v_mul_f64 v[53:54], v[4:5], s[4:5]
	v_fma_f64 v[20:21], v[20:21], s[10:11], v[16:17]
	v_fma_f64 v[31:32], v[31:32], s[10:11], v[18:19]
	v_fma_f64 v[39:40], v[35:36], s[18:19], -v[43:44]
	v_fma_f64 v[41:42], v[37:38], s[18:19], -v[45:46]
	;; [unrolled: 1-line block ×4, first 2 shown]
	v_fma_f64 v[35:36], v[10:11], s[20:21], v[47:48]
	v_fma_f64 v[37:38], v[12:13], s[20:21], v[49:50]
	;; [unrolled: 1-line block ×4, first 2 shown]
	v_fma_f64 v[6:7], v[6:7], s[4:5], -v[47:48]
	v_fma_f64 v[4:5], v[4:5], s[4:5], -v[49:50]
	v_fma_f64 v[10:11], v[10:11], s[16:17], -v[51:52]
	v_fma_f64 v[12:13], v[12:13], s[16:17], -v[53:54]
	v_fma_f64 v[35:36], v[22:23], s[6:7], v[35:36]
	v_fma_f64 v[37:38], v[33:34], s[6:7], v[37:38]
	v_add_f64 v[47:48], v[20:21], v[8:9]
	v_add_f64 v[49:50], v[31:32], v[14:15]
	v_fma_f64 v[43:44], v[22:23], s[6:7], v[6:7]
	v_fma_f64 v[45:46], v[33:34], s[6:7], v[4:5]
	;; [unrolled: 1-line block ×4, first 2 shown]
	v_add_f64 v[20:21], v[16:17], v[8:9]
	v_add_f64 v[31:32], v[18:19], v[14:15]
	;; [unrolled: 1-line block ×5, first 2 shown]
	v_add_f64 v[6:7], v[49:50], -v[35:36]
	v_mul_u32_u24_e32 v39, 6, v26
	v_add_f64 v[8:9], v[33:34], v[20:21]
	v_add_f64 v[10:11], v[31:32], -v[22:23]
	v_add_f64 v[12:13], v[16:17], -v[45:46]
	v_add_f64 v[14:15], v[43:44], v[18:19]
	v_add_f64 v[16:17], v[45:46], v[16:17]
	v_add_f64 v[18:19], v[18:19], -v[43:44]
	v_add_f64 v[20:21], v[20:21], -v[33:34]
	v_add_f64 v[22:23], v[22:23], v[31:32]
	v_add_f64 v[33:34], v[35:36], v[49:50]
	v_mov_b32_e32 v36, 4
	v_add_f64 v[31:32], v[47:48], -v[37:38]
	v_mad_u32_u24 v35, v57, s26, 0
	v_lshlrev_b32_sdwa v36, v36, v58 dst_sel:DWORD dst_unused:UNUSED_PAD src0_sel:DWORD src1_sel:BYTE_0
	v_add3_u32 v30, v35, v36, v30
	ds_write_b128 v30, v[0:3]
	ds_write_b128 v30, v[4:7] offset:96
	ds_write_b128 v30, v[8:11] offset:192
	ds_write_b128 v30, v[12:15] offset:288
	ds_write_b128 v30, v[16:19] offset:384
	ds_write_b128 v30, v[20:23] offset:480
	ds_write_b128 v30, v[31:34] offset:576
	v_lshlrev_b32_e32 v30, 4, v39
	s_waitcnt lgkmcnt(0)
	s_barrier
	global_load_dwordx4 v[0:3], v30, s[8:9] offset:576
	global_load_dwordx4 v[4:7], v30, s[8:9] offset:592
	;; [unrolled: 1-line block ×6, first 2 shown]
	ds_read_b128 v[30:33], v59
	ds_read_b128 v[34:37], v29 offset:1344
	ds_read_b128 v[38:41], v29 offset:4032
	;; [unrolled: 1-line block ×3, first 2 shown]
	ds_read_b128 v[46:49], v28
	s_waitcnt vmcnt(5) lgkmcnt(4)
	v_mul_f64 v[50:51], v[32:33], v[2:3]
	v_mul_f64 v[2:3], v[30:31], v[2:3]
	s_waitcnt vmcnt(4) lgkmcnt(3)
	v_mul_f64 v[52:53], v[36:37], v[6:7]
	v_mul_f64 v[6:7], v[34:35], v[6:7]
	;; [unrolled: 3-line block ×3, first 2 shown]
	v_fma_f64 v[50:51], v[30:31], v[0:1], -v[50:51]
	v_fma_f64 v[54:55], v[32:33], v[0:1], v[2:3]
	ds_read_b128 v[0:3], v29 offset:2016
	ds_read_b128 v[30:33], v29 offset:2688
	v_fma_f64 v[34:35], v[34:35], v[4:5], -v[52:53]
	v_fma_f64 v[4:5], v[36:37], v[4:5], v[6:7]
	s_waitcnt vmcnt(1) lgkmcnt(3)
	v_mul_f64 v[36:37], v[44:45], v[18:19]
	s_waitcnt lgkmcnt(1)
	v_mul_f64 v[6:7], v[2:3], v[14:15]
	v_mul_f64 v[14:15], v[0:1], v[14:15]
	;; [unrolled: 1-line block ×3, first 2 shown]
	v_fma_f64 v[38:39], v[38:39], v[8:9], -v[56:57]
	v_fma_f64 v[8:9], v[40:41], v[8:9], v[10:11]
	s_waitcnt vmcnt(0) lgkmcnt(0)
	v_mul_f64 v[10:11], v[32:33], v[22:23]
	v_mul_f64 v[22:23], v[30:31], v[22:23]
	v_fma_f64 v[0:1], v[0:1], v[12:13], -v[6:7]
	v_fma_f64 v[2:3], v[2:3], v[12:13], v[14:15]
	v_fma_f64 v[6:7], v[42:43], v[16:17], -v[36:37]
	v_fma_f64 v[12:13], v[44:45], v[16:17], v[18:19]
	v_add_f64 v[16:17], v[50:51], v[38:39]
	v_fma_f64 v[10:11], v[30:31], v[20:21], -v[10:11]
	v_fma_f64 v[14:15], v[32:33], v[20:21], v[22:23]
	v_add_f64 v[18:19], v[54:55], v[8:9]
	v_add_f64 v[20:21], v[50:51], -v[38:39]
	v_add_f64 v[8:9], v[54:55], -v[8:9]
	v_add_f64 v[22:23], v[34:35], v[6:7]
	v_add_f64 v[30:31], v[4:5], v[12:13]
	v_add_f64 v[6:7], v[34:35], -v[6:7]
	v_add_f64 v[4:5], v[4:5], -v[12:13]
	v_add_f64 v[12:13], v[0:1], v[10:11]
	;; [unrolled: 4-line block ×3, first 2 shown]
	v_add_f64 v[14:15], v[30:31], v[18:19]
	v_add_f64 v[34:35], v[22:23], -v[16:17]
	v_add_f64 v[36:37], v[30:31], -v[18:19]
	;; [unrolled: 1-line block ×6, first 2 shown]
	v_add_f64 v[38:39], v[0:1], v[6:7]
	v_add_f64 v[40:41], v[2:3], v[4:5]
	v_add_f64 v[42:43], v[0:1], -v[6:7]
	v_add_f64 v[44:45], v[2:3], -v[4:5]
	v_add_f64 v[10:11], v[12:13], v[10:11]
	v_add_f64 v[12:13], v[32:33], v[14:15]
	v_add_f64 v[6:7], v[6:7], -v[20:21]
	v_add_f64 v[4:5], v[4:5], -v[8:9]
	;; [unrolled: 1-line block ×4, first 2 shown]
	v_add_f64 v[14:15], v[38:39], v[20:21]
	v_add_f64 v[8:9], v[40:41], v[8:9]
	v_mul_f64 v[16:17], v[16:17], s[24:25]
	v_mul_f64 v[18:19], v[18:19], s[24:25]
	;; [unrolled: 1-line block ×6, first 2 shown]
	v_add_f64 v[0:1], v[46:47], v[10:11]
	v_add_f64 v[2:3], v[48:49], v[12:13]
	v_mul_f64 v[42:43], v[6:7], s[4:5]
	v_mul_f64 v[44:45], v[4:5], s[4:5]
	v_fma_f64 v[22:23], v[22:23], s[10:11], v[16:17]
	v_fma_f64 v[30:31], v[30:31], s[10:11], v[18:19]
	v_fma_f64 v[20:21], v[34:35], s[18:19], -v[20:21]
	v_fma_f64 v[32:33], v[36:37], s[18:19], -v[32:33]
	;; [unrolled: 1-line block ×4, first 2 shown]
	v_fma_f64 v[34:35], v[50:51], s[20:21], v[38:39]
	v_fma_f64 v[36:37], v[52:53], s[20:21], v[40:41]
	;; [unrolled: 1-line block ×4, first 2 shown]
	v_fma_f64 v[6:7], v[6:7], s[4:5], -v[38:39]
	v_fma_f64 v[4:5], v[4:5], s[4:5], -v[40:41]
	;; [unrolled: 1-line block ×4, first 2 shown]
	v_fma_f64 v[34:35], v[14:15], s[6:7], v[34:35]
	v_fma_f64 v[36:37], v[8:9], s[6:7], v[36:37]
	v_add_f64 v[46:47], v[22:23], v[10:11]
	v_add_f64 v[48:49], v[30:31], v[12:13]
	;; [unrolled: 1-line block ×4, first 2 shown]
	v_fma_f64 v[38:39], v[14:15], s[6:7], v[38:39]
	v_fma_f64 v[40:41], v[8:9], s[6:7], v[40:41]
	;; [unrolled: 1-line block ×4, first 2 shown]
	v_add_f64 v[16:17], v[20:21], v[10:11]
	v_add_f64 v[18:19], v[32:33], v[12:13]
	;; [unrolled: 1-line block ×3, first 2 shown]
	v_add_f64 v[6:7], v[48:49], -v[34:35]
	v_add_f64 v[10:11], v[30:31], -v[38:39]
	v_add_f64 v[8:9], v[40:41], v[22:23]
	v_add_f64 v[20:21], v[22:23], -v[40:41]
	v_add_f64 v[22:23], v[38:39], v[30:31]
	;; [unrolled: 2-line block ×3, first 2 shown]
	v_add_f64 v[16:17], v[44:45], v[16:17]
	v_add_f64 v[18:19], v[18:19], -v[42:43]
	v_add_f64 v[30:31], v[46:47], -v[36:37]
	v_add_f64 v[32:33], v[34:35], v[48:49]
	s_barrier
	ds_write_b128 v29, v[0:3]
	ds_write_b128 v29, v[4:7] offset:672
	ds_write_b128 v29, v[8:11] offset:1344
	;; [unrolled: 1-line block ×6, first 2 shown]
	s_waitcnt lgkmcnt(0)
	s_barrier
	s_and_saveexec_b64 s[0:1], vcc
	s_cbranch_execz .LBB0_16
; %bb.15:
	v_mad_u64_u32 v[0:1], s[0:1], s2, v26, 0
	v_mad_u64_u32 v[8:9], s[0:1], s2, v27, 0
	;; [unrolled: 1-line block ×3, first 2 shown]
	v_mov_b32_e32 v2, s13
	v_add_co_u32_e32 v15, vcc, s12, v24
	v_lshlrev_b64 v[0:1], 4, v[0:1]
	v_addc_co_u32_e32 v16, vcc, v2, v25, vcc
	v_add_co_u32_e32 v10, vcc, v15, v0
	v_mov_b32_e32 v0, v9
	v_mad_u64_u32 v[12:13], s[0:1], s3, v27, v[0:1]
	v_add_u32_e32 v17, 0x54, v26
	v_addc_co_u32_e32 v11, vcc, v16, v1, vcc
	ds_read_b128 v[0:3], v28
	ds_read_b128 v[4:7], v28 offset:672
	v_mad_u64_u32 v[13:14], s[0:1], s2, v17, 0
	v_mov_b32_e32 v9, v12
	s_waitcnt lgkmcnt(1)
	global_store_dwordx4 v[10:11], v[0:3], off
	s_nop 0
	v_mov_b32_e32 v2, v14
	v_mad_u64_u32 v[2:3], s[0:1], s3, v17, v[2:3]
	v_lshlrev_b64 v[0:1], 4, v[8:9]
	v_add_u32_e32 v17, 0xa8, v26
	v_mov_b32_e32 v14, v2
	v_add_u32_e32 v2, 0x7e, v26
	v_add_co_u32_e32 v0, vcc, v15, v0
	v_mad_u64_u32 v[8:9], s[0:1], s2, v2, 0
	v_addc_co_u32_e32 v1, vcc, v16, v1, vcc
	s_waitcnt lgkmcnt(0)
	global_store_dwordx4 v[0:1], v[4:7], off
	v_lshlrev_b64 v[0:1], 4, v[13:14]
	v_add_co_u32_e32 v10, vcc, v15, v0
	v_mov_b32_e32 v0, v9
	v_mad_u64_u32 v[12:13], s[0:1], s3, v2, v[0:1]
	v_addc_co_u32_e32 v11, vcc, v16, v1, vcc
	ds_read_b128 v[0:3], v28 offset:1344
	ds_read_b128 v[4:7], v28 offset:2016
	v_mad_u64_u32 v[13:14], s[0:1], s2, v17, 0
	v_mov_b32_e32 v9, v12
	s_waitcnt lgkmcnt(1)
	global_store_dwordx4 v[10:11], v[0:3], off
	s_nop 0
	v_mov_b32_e32 v2, v14
	v_mad_u64_u32 v[2:3], s[0:1], s3, v17, v[2:3]
	v_lshlrev_b64 v[0:1], 4, v[8:9]
	v_add_u32_e32 v17, 0xfc, v26
	v_mov_b32_e32 v14, v2
	v_add_u32_e32 v2, 0xd2, v26
	v_add_co_u32_e32 v0, vcc, v15, v0
	v_mad_u64_u32 v[8:9], s[0:1], s2, v2, 0
	v_addc_co_u32_e32 v1, vcc, v16, v1, vcc
	s_waitcnt lgkmcnt(0)
	global_store_dwordx4 v[0:1], v[4:7], off
	v_lshlrev_b64 v[0:1], 4, v[13:14]
	v_add_co_u32_e32 v10, vcc, v15, v0
	v_mov_b32_e32 v0, v9
	v_mad_u64_u32 v[12:13], s[0:1], s3, v2, v[0:1]
	v_addc_co_u32_e32 v11, vcc, v16, v1, vcc
	ds_read_b128 v[0:3], v28 offset:2688
	ds_read_b128 v[4:7], v28 offset:3360
	v_mad_u64_u32 v[13:14], s[0:1], s2, v17, 0
	v_mov_b32_e32 v9, v12
	s_waitcnt lgkmcnt(1)
	global_store_dwordx4 v[10:11], v[0:3], off
	s_nop 0
	v_mov_b32_e32 v2, v14
	v_lshlrev_b64 v[0:1], 4, v[8:9]
	v_mad_u64_u32 v[2:3], s[0:1], s3, v17, v[2:3]
	v_add_co_u32_e32 v0, vcc, v15, v0
	v_addc_co_u32_e32 v1, vcc, v16, v1, vcc
	s_waitcnt lgkmcnt(0)
	global_store_dwordx4 v[0:1], v[4:7], off
	v_mov_b32_e32 v14, v2
	ds_read_b128 v[0:3], v28 offset:4032
	v_lshlrev_b64 v[4:5], 4, v[13:14]
	v_add_co_u32_e32 v4, vcc, v15, v4
	v_addc_co_u32_e32 v5, vcc, v16, v5, vcc
	s_waitcnt lgkmcnt(0)
	global_store_dwordx4 v[4:5], v[0:3], off
.LBB0_16:
	s_endpgm
	.section	.rodata,"a",@progbits
	.p2align	6, 0x0
	.amdhsa_kernel fft_rtc_fwd_len294_factors_6_7_7_wgs_126_tpt_42_dp_ip_CI_sbrr_dirReg
		.amdhsa_group_segment_fixed_size 0
		.amdhsa_private_segment_fixed_size 0
		.amdhsa_kernarg_size 88
		.amdhsa_user_sgpr_count 6
		.amdhsa_user_sgpr_private_segment_buffer 1
		.amdhsa_user_sgpr_dispatch_ptr 0
		.amdhsa_user_sgpr_queue_ptr 0
		.amdhsa_user_sgpr_kernarg_segment_ptr 1
		.amdhsa_user_sgpr_dispatch_id 0
		.amdhsa_user_sgpr_flat_scratch_init 0
		.amdhsa_user_sgpr_private_segment_size 0
		.amdhsa_uses_dynamic_stack 0
		.amdhsa_system_sgpr_private_segment_wavefront_offset 0
		.amdhsa_system_sgpr_workgroup_id_x 1
		.amdhsa_system_sgpr_workgroup_id_y 0
		.amdhsa_system_sgpr_workgroup_id_z 0
		.amdhsa_system_sgpr_workgroup_info 0
		.amdhsa_system_vgpr_workitem_id 0
		.amdhsa_next_free_vgpr 66
		.amdhsa_next_free_sgpr 27
		.amdhsa_reserve_vcc 1
		.amdhsa_reserve_flat_scratch 0
		.amdhsa_float_round_mode_32 0
		.amdhsa_float_round_mode_16_64 0
		.amdhsa_float_denorm_mode_32 3
		.amdhsa_float_denorm_mode_16_64 3
		.amdhsa_dx10_clamp 1
		.amdhsa_ieee_mode 1
		.amdhsa_fp16_overflow 0
		.amdhsa_exception_fp_ieee_invalid_op 0
		.amdhsa_exception_fp_denorm_src 0
		.amdhsa_exception_fp_ieee_div_zero 0
		.amdhsa_exception_fp_ieee_overflow 0
		.amdhsa_exception_fp_ieee_underflow 0
		.amdhsa_exception_fp_ieee_inexact 0
		.amdhsa_exception_int_div_zero 0
	.end_amdhsa_kernel
	.text
.Lfunc_end0:
	.size	fft_rtc_fwd_len294_factors_6_7_7_wgs_126_tpt_42_dp_ip_CI_sbrr_dirReg, .Lfunc_end0-fft_rtc_fwd_len294_factors_6_7_7_wgs_126_tpt_42_dp_ip_CI_sbrr_dirReg
                                        ; -- End function
	.section	.AMDGPU.csdata,"",@progbits
; Kernel info:
; codeLenInByte = 5620
; NumSgprs: 31
; NumVgprs: 66
; ScratchSize: 0
; MemoryBound: 0
; FloatMode: 240
; IeeeMode: 1
; LDSByteSize: 0 bytes/workgroup (compile time only)
; SGPRBlocks: 3
; VGPRBlocks: 16
; NumSGPRsForWavesPerEU: 31
; NumVGPRsForWavesPerEU: 66
; Occupancy: 3
; WaveLimiterHint : 1
; COMPUTE_PGM_RSRC2:SCRATCH_EN: 0
; COMPUTE_PGM_RSRC2:USER_SGPR: 6
; COMPUTE_PGM_RSRC2:TRAP_HANDLER: 0
; COMPUTE_PGM_RSRC2:TGID_X_EN: 1
; COMPUTE_PGM_RSRC2:TGID_Y_EN: 0
; COMPUTE_PGM_RSRC2:TGID_Z_EN: 0
; COMPUTE_PGM_RSRC2:TIDIG_COMP_CNT: 0
	.type	__hip_cuid_e963eded02ae4d57,@object ; @__hip_cuid_e963eded02ae4d57
	.section	.bss,"aw",@nobits
	.globl	__hip_cuid_e963eded02ae4d57
__hip_cuid_e963eded02ae4d57:
	.byte	0                               ; 0x0
	.size	__hip_cuid_e963eded02ae4d57, 1

	.ident	"AMD clang version 19.0.0git (https://github.com/RadeonOpenCompute/llvm-project roc-6.4.0 25133 c7fe45cf4b819c5991fe208aaa96edf142730f1d)"
	.section	".note.GNU-stack","",@progbits
	.addrsig
	.addrsig_sym __hip_cuid_e963eded02ae4d57
	.amdgpu_metadata
---
amdhsa.kernels:
  - .args:
      - .actual_access:  read_only
        .address_space:  global
        .offset:         0
        .size:           8
        .value_kind:     global_buffer
      - .offset:         8
        .size:           8
        .value_kind:     by_value
      - .actual_access:  read_only
        .address_space:  global
        .offset:         16
        .size:           8
        .value_kind:     global_buffer
      - .actual_access:  read_only
        .address_space:  global
        .offset:         24
        .size:           8
        .value_kind:     global_buffer
      - .offset:         32
        .size:           8
        .value_kind:     by_value
      - .actual_access:  read_only
        .address_space:  global
        .offset:         40
        .size:           8
        .value_kind:     global_buffer
      - .actual_access:  read_only
        .address_space:  global
        .offset:         48
        .size:           8
        .value_kind:     global_buffer
      - .offset:         56
        .size:           4
        .value_kind:     by_value
      - .actual_access:  read_only
        .address_space:  global
        .offset:         64
        .size:           8
        .value_kind:     global_buffer
      - .actual_access:  read_only
        .address_space:  global
        .offset:         72
        .size:           8
        .value_kind:     global_buffer
      - .address_space:  global
        .offset:         80
        .size:           8
        .value_kind:     global_buffer
    .group_segment_fixed_size: 0
    .kernarg_segment_align: 8
    .kernarg_segment_size: 88
    .language:       OpenCL C
    .language_version:
      - 2
      - 0
    .max_flat_workgroup_size: 126
    .name:           fft_rtc_fwd_len294_factors_6_7_7_wgs_126_tpt_42_dp_ip_CI_sbrr_dirReg
    .private_segment_fixed_size: 0
    .sgpr_count:     31
    .sgpr_spill_count: 0
    .symbol:         fft_rtc_fwd_len294_factors_6_7_7_wgs_126_tpt_42_dp_ip_CI_sbrr_dirReg.kd
    .uniform_work_group_size: 1
    .uses_dynamic_stack: false
    .vgpr_count:     66
    .vgpr_spill_count: 0
    .wavefront_size: 64
amdhsa.target:   amdgcn-amd-amdhsa--gfx906
amdhsa.version:
  - 1
  - 2
...

	.end_amdgpu_metadata
